;; amdgpu-corpus repo=llvm/llvm-project kind=harvested arch=n/a opt=n/a
// NOTE: Assertions have been autogenerated by utils/update_mc_test_checks.py UTC_ARGS: --unique --sort --version 6
// RUN: not llvm-mc -triple=amdgcn -mcpu=tonga %s -filetype=null 2>&1 | FileCheck -check-prefix=NOVI --implicit-check-not=error: %s

exp mrt0 v1, v2, v3, v4000 off
// NOVI: :[[@LINE-1]]:22: error: register index is out of range

s_mov_b32 s1, [s0, 1
// NOVI: :[[@LINE-1]]:20: error: expected a register or a list of registers

s_mov_b32 s1, [s0, s0
// NOVI: :[[@LINE-1]]:20: error: registers in a list must have consecutive indices

s_mov_b32 s1, [s[0 1
// NOVI: :[[@LINE-1]]:20: error: expected a closing square bracket

s_mov_b32 s1, [s[0 s0
// NOVI: :[[@LINE-1]]:20: error: expected a closing square bracket

s_mov_b32 s1, [s[0:1] 1
// NOVI: :[[@LINE-1]]:16: error: expected a single 32-bit register

s_mov_b32 s1, [s[0:1] s0
// NOVI: :[[@LINE-1]]:16: error: expected a single 32-bit register

s_mov_b32 s1, s 1
// NOVI: :[[@LINE-1]]:17: error: invalid operand for instruction

s_mov_b32 s1, s s0
// NOVI: :[[@LINE-1]]:17: error: invalid operand for instruction

s_mov_b32 s1, s999 1
// NOVI: :[[@LINE-1]]:15: error: register index is out of range

s_mov_b32 s1, s999 s0
// NOVI: :[[@LINE-1]]:15: error: register index is out of range

s_mov_b32 s1, s[0 1
// NOVI: :[[@LINE-1]]:19: error: expected a closing square bracket

s_mov_b32 s1, s[0 s0
// NOVI: :[[@LINE-1]]:19: error: expected a closing square bracket

s_mov_b32 s1, s[0:-1]
// NOVI: :[[@LINE-1]]:19: error: invalid register index

s_mov_b32 s1, s[0:0 1
// NOVI: :[[@LINE-1]]:21: error: expected a closing square bracket

s_mov_b32 s1, s[0:0 s0
// NOVI: :[[@LINE-1]]:21: error: expected a closing square bracket

s_mov_b32 s1, s[0:2] 1
// NOVI: :[[@LINE-1]]:15: error: invalid operand for instruction

s_mov_b32 s1, s[0:2] vcc_lo
// NOVI: :[[@LINE-1]]:15: error: invalid operand for instruction

s_mov_b32 s1, s[1:2] 1
// NOVI: :[[@LINE-1]]:15: error: invalid register alignment

s_mov_b32 s1, s[1:2] s0
// NOVI: :[[@LINE-1]]:15: error: invalid register alignment

s_mov_b32 s1, xnack_mask_lo 1
// NOVI: :[[@LINE-1]]:15: error: xnack_mask_lo register not available on this GPU

s_mov_b32 s1, xnack_mask_lo s1
// NOVI: :[[@LINE-1]]:15: error: xnack_mask_lo register not available on this GPU

s_mov_b64 s[10:11], [a0,a2]
// NOVI: :[[@LINE-1]]:25: error: registers in a list must have consecutive indices

s_mov_b64 s[10:11], [a0,v1]
// NOVI: :[[@LINE-1]]:25: error: registers in a list must be of the same kind

s_mov_b64 s[10:11], [exec,exec_lo]
// NOVI: :[[@LINE-1]]:27: error: register does not fit in the list

s_mov_b64 s[10:11], [exec_hi,exec_lo]
// NOVI: :[[@LINE-1]]:30: error: register does not fit in the list

s_mov_b64 s[10:11], [exec_lo,exec]
// NOVI: :[[@LINE-1]]:30: error: register does not fit in the list

s_mov_b64 s[10:11], [exec_lo,exec_lo]
// NOVI: :[[@LINE-1]]:30: error: register does not fit in the list

s_mov_b64 s[10:11], [exec_lo,s0]
// NOVI: :[[@LINE-1]]:30: error: registers in a list must be of the same kind

s_mov_b64 s[10:11], [exec_lo,vcc_hi]
// NOVI: :[[@LINE-1]]:30: error: register does not fit in the list

s_mov_b64 s[10:11], [s
// NOVI: :[[@LINE-1]]:23: error: missing register index

s_mov_b64 s[10:11], [s,s1]
// NOVI: :[[@LINE-1]]:23: error: missing register index

s_mov_b64 s[10:11], [s0
// NOVI: :[[@LINE-1]]:24: error: expected a comma or a closing square bracket

s_mov_b64 s[10:11], [s0,exec]
// NOVI: :[[@LINE-1]]:25: error: registers in a list must be of the same kind

s_mov_b64 s[10:11], [s0,exec_lo]
// NOVI: :[[@LINE-1]]:25: error: registers in a list must be of the same kind

s_mov_b64 s[10:11], [s0,s0]
// NOVI: :[[@LINE-1]]:25: error: registers in a list must have consecutive indices

s_mov_b64 s[10:11], [s0,s1
// NOVI: :[[@LINE-1]]:27: error: expected a comma or a closing square bracket

s_mov_b64 s[10:11], [s0,s2]
// NOVI: :[[@LINE-1]]:25: error: registers in a list must have consecutive indices

s_mov_b64 s[10:11], [s0,s[2:3]]
// NOVI: :[[@LINE-1]]:25: error: expected a single 32-bit register

s_mov_b64 s[10:11], [s0,v1]
// NOVI: :[[@LINE-1]]:25: error: registers in a list must be of the same kind

s_mov_b64 s[10:11], [s01,s1]
// NOVI: :[[@LINE-1]]:26: error: registers in a list must have consecutive indices

s_mov_b64 s[10:11], [s0x]
// NOVI: :[[@LINE-1]]:22: error: invalid register index

s_mov_b64 s[10:11], [s2,s1]
// NOVI: :[[@LINE-1]]:25: error: registers in a list must have consecutive indices

s_mov_b64 s[10:11], [s[0:1],s[2:3]]
// NOVI: :[[@LINE-1]]:22: error: expected a single 32-bit register

s_mov_b64 s[10:11], [v0,s1]
// NOVI: :[[@LINE-1]]:25: error: registers in a list must be of the same kind

s_mov_b64 s[10:11], [x0,s1]
// NOVI: :[[@LINE-1]]:22: error: invalid register name

s_mov_b64 s[10:11], s[1:0]
// NOVI: :[[@LINE-1]]:23: error: first register index should not exceed second index

v_add_f64 v[0:1], v[0:1], v[0x1:0xF00000002]
// NOVI: :[[@LINE-1]]:33: error: invalid register index

v_add_f64 v[0:1], v[0:1], v[0xF00000001:0x2]
// NOVI: :[[@LINE-1]]:29: error: invalid register index
